;; amdgpu-corpus repo=zjin-lcf/HeCBench kind=compiled arch=gfx1100 opt=O3
	.text
	.amdgcn_target "amdgcn-amd-amdhsa--gfx1100"
	.amdhsa_code_object_version 6
	.protected	_Z2mdPK7box_strPK11FOUR_VECTORPKfPS2_fi ; -- Begin function _Z2mdPK7box_strPK11FOUR_VECTORPKfPS2_fi
	.globl	_Z2mdPK7box_strPK11FOUR_VECTORPKfPS2_fi
	.p2align	8
	.type	_Z2mdPK7box_strPK11FOUR_VECTORPKfPS2_fi,@function
_Z2mdPK7box_strPK11FOUR_VECTORPKfPS2_fi: ; @_Z2mdPK7box_strPK11FOUR_VECTORPKfPS2_fi
; %bb.0:
	s_load_b64 s[2:3], s[0:1], 0x20
	s_waitcnt lgkmcnt(0)
	s_cmp_ge_i32 s15, s3
	s_cbranch_scc1 .LBB0_14
; %bb.1:
	s_load_b256 s[16:23], s[0:1], 0x0
	s_mul_i32 s0, s15, 0x290
	s_mul_hi_i32 s1, s15, 0x290
	v_cmp_gt_u32_e32 vcc_lo, 0x64, v0
	v_lshlrev_b32_e32 v11, 4, v0
	s_waitcnt lgkmcnt(0)
	s_add_u32 s6, s16, s0
	s_addc_u32 s7, s17, s1
	s_load_b32 s0, s[6:7], 0x10
	s_waitcnt lgkmcnt(0)
	v_add_nc_u32_e32 v1, s0, v0
	s_delay_alu instid0(VALU_DEP_1)
	v_ashrrev_i32_e32 v2, 31, v1
	s_and_saveexec_b32 s1, vcc_lo
	s_cbranch_execz .LBB0_3
; %bb.2:
	s_delay_alu instid0(VALU_DEP_1) | instskip(NEXT) | instid1(VALU_DEP_1)
	v_lshlrev_b64 v[3:4], 4, v[1:2]
	v_add_co_u32 v3, s0, s18, v3
	s_delay_alu instid0(VALU_DEP_1)
	v_add_co_ci_u32_e64 v4, s0, s19, v4, s0
	global_load_b128 v[3:6], v[3:4], off
	s_waitcnt vmcnt(0)
	ds_store_2addr_b32 v11, v5, v6 offset0:2 offset1:3
	ds_store_2addr_b32 v11, v3, v4 offset1:1
.LBB0_3:
	s_or_b32 exec_lo, exec_lo, s1
	s_waitcnt lgkmcnt(0)
	s_barrier
	buffer_gl0_inv
	s_load_b32 s0, s[6:7], 0x18
	s_mov_b32 s5, 0
	s_waitcnt lgkmcnt(0)
	s_cmp_lt_i32 s0, 0
	s_cbranch_scc1 .LBB0_14
; %bb.4:
	v_lshlrev_b64 v[1:2], 4, v[1:2]
	v_mul_f32_e64 v3, s2, -2.0
	v_add_nc_u32_e32 v12, 0x640, v11
	v_lshl_add_u32 v13, v0, 2, 0xc80
	s_add_u32 s8, s6, 8
	s_addc_u32 s9, s7, 0
	v_add_co_u32 v9, s0, s22, v1
	v_mul_f32_e32 v14, s2, v3
	v_add_co_ci_u32_e64 v10, s0, s23, v2, s0
	s_branch .LBB0_6
.LBB0_5:                                ;   in Loop: Header=BB0_6 Depth=1
	s_or_b32 exec_lo, exec_lo, s10
	s_waitcnt_vscnt null, 0x0
	s_barrier
	buffer_gl0_inv
	s_load_b32 s0, s[6:7], 0x18
	s_add_i32 s1, s5, 1
	s_waitcnt lgkmcnt(0)
	s_cmp_lt_i32 s5, s0
	s_mov_b32 s5, s1
	s_cbranch_scc0 .LBB0_14
.LBB0_6:                                ; =>This Loop Header: Depth=1
                                        ;     Child Loop BB0_12 Depth 2
	s_cmp_eq_u32 s5, 0
	s_mov_b32 s0, s15
	s_cbranch_scc1 .LBB0_8
; %bb.7:                                ;   in Loop: Header=BB0_6 Depth=1
	s_mul_i32 s0, s5, 24
	s_mul_hi_i32 s1, s5, 24
	s_add_u32 s0, s8, s0
	s_addc_u32 s1, s9, s1
	s_load_b32 s0, s[0:1], 0xc
.LBB0_8:                                ;   in Loop: Header=BB0_6 Depth=1
	s_and_saveexec_b32 s1, vcc_lo
	s_cbranch_execz .LBB0_10
; %bb.9:                                ;   in Loop: Header=BB0_6 Depth=1
	s_waitcnt lgkmcnt(0)
	s_mul_i32 s2, s0, 0x290
	s_mul_hi_i32 s0, s0, 0x290
	s_add_u32 s2, s16, s2
	s_addc_u32 s3, s17, s0
	s_load_b32 s0, s[2:3], 0x10
	s_waitcnt lgkmcnt(0)
	v_add_nc_u32_e32 v1, s0, v0
	s_delay_alu instid0(VALU_DEP_1) | instskip(NEXT) | instid1(VALU_DEP_1)
	v_ashrrev_i32_e32 v2, 31, v1
	v_lshlrev_b64 v[3:4], 4, v[1:2]
	v_lshlrev_b64 v[1:2], 2, v[1:2]
	s_delay_alu instid0(VALU_DEP_2) | instskip(NEXT) | instid1(VALU_DEP_1)
	v_add_co_u32 v3, s0, s18, v3
	v_add_co_ci_u32_e64 v4, s0, s19, v4, s0
	s_delay_alu instid0(VALU_DEP_3) | instskip(NEXT) | instid1(VALU_DEP_1)
	v_add_co_u32 v5, s0, s20, v1
	v_add_co_ci_u32_e64 v6, s0, s21, v2, s0
	global_load_b128 v[1:4], v[3:4], off
	global_load_b32 v5, v[5:6], off
	s_waitcnt vmcnt(1)
	ds_store_2addr_b32 v12, v3, v4 offset0:2 offset1:3
	ds_store_2addr_b32 v12, v1, v2 offset1:1
	s_waitcnt vmcnt(0)
	ds_store_b32 v13, v5
.LBB0_10:                               ;   in Loop: Header=BB0_6 Depth=1
	s_or_b32 exec_lo, exec_lo, s1
	s_waitcnt lgkmcnt(0)
	s_barrier
	buffer_gl0_inv
	s_and_saveexec_b32 s10, vcc_lo
	s_cbranch_execz .LBB0_5
; %bb.11:                               ;   in Loop: Header=BB0_6 Depth=1
	global_load_b128 v[1:4], v[9:10], off
	ds_load_b128 v[5:8], v11
	s_mov_b32 s11, 0
	s_movk_i32 s12, 0xf9c0
.LBB0_12:                               ;   Parent Loop BB0_6 Depth=1
                                        ; =>  This Inner Loop Header: Depth=2
	s_add_i32 s0, s11, 0xc80
	s_delay_alu instid0(SALU_CYCLE_1)
	v_dual_mov_b32 v31, s12 :: v_dual_mov_b32 v32, s0
	s_add_i32 s1, s11, 0xc88
	v_mov_b32_e32 v39, s11
	v_mov_b32_e32 v37, s1
	ds_load_b128 v[15:18], v31 offset:3200
	ds_load_b128 v[19:22], v31 offset:3216
	;; [unrolled: 1-line block ×4, first 2 shown]
	ds_load_2addr_b32 v[35:36], v32 offset1:1
	ds_load_b128 v[31:34], v31 offset:3264
	ds_load_2addr_b32 v[37:38], v37 offset1:1
	ds_load_b32 v39, v39 offset:3216
	s_add_i32 s11, s11, 20
	s_addk_i32 s12, 0x50
	s_cmpk_lg_i32 s11, 0x190
	s_waitcnt lgkmcnt(7)
	v_dual_sub_f32 v42, v8, v18 :: v_dual_sub_f32 v41, v6, v16
	s_waitcnt lgkmcnt(5)
	v_mul_f32_e32 v46, v7, v25
	v_dual_mul_f32 v40, v7, v17 :: v_dual_add_f32 v23, v5, v23
	s_waitcnt lgkmcnt(2)
	v_dual_mul_f32 v43, v7, v21 :: v_dual_sub_f32 v54, v8, v34
	s_delay_alu instid0(VALU_DEP_3) | instskip(NEXT) | instid1(VALU_DEP_3)
	v_dual_fmac_f32 v46, v6, v24 :: v_dual_sub_f32 v21, v7, v21
	v_dual_fmac_f32 v40, v6, v16 :: v_dual_add_f32 v27, v5, v27
	s_delay_alu instid0(VALU_DEP_2) | instskip(NEXT) | instid1(VALU_DEP_2)
	v_dual_sub_f32 v47, v6, v24 :: v_dual_fmac_f32 v46, v8, v26
	v_dual_add_f32 v31, v5, v31 :: v_dual_fmac_f32 v40, v8, v18
	v_dual_add_f32 v15, v5, v15 :: v_dual_sub_f32 v44, v6, v20
	s_delay_alu instid0(VALU_DEP_3) | instskip(SKIP_2) | instid1(VALU_DEP_3)
	v_sub_f32_e32 v18, v23, v46
	v_dual_sub_f32 v45, v8, v22 :: v_dual_mul_f32 v52, v7, v33
	v_sub_f32_e32 v33, v7, v33
	v_dual_sub_f32 v25, v7, v25 :: v_dual_mul_f32 v18, v14, v18
	v_fmac_f32_e32 v43, v6, v20
	s_delay_alu instid0(VALU_DEP_4) | instskip(NEXT) | instid1(VALU_DEP_3)
	v_dual_fmac_f32 v52, v6, v32 :: v_dual_mul_f32 v49, v7, v29
	v_dual_sub_f32 v15, v15, v40 :: v_dual_mul_f32 v24, 0x3fb8aa3b, v18
	v_dual_add_f32 v19, v5, v19 :: v_dual_sub_f32 v50, v6, v28
	s_delay_alu instid0(VALU_DEP_3) | instskip(NEXT) | instid1(VALU_DEP_3)
	v_dual_fmac_f32 v52, v8, v34 :: v_dual_fmac_f32 v49, v6, v28
	v_fma_f32 v34, 0x3fb8aa3b, v18, -v24
	s_delay_alu instid0(VALU_DEP_4) | instskip(NEXT) | instid1(VALU_DEP_3)
	v_mul_f32_e32 v15, v14, v15
	v_dual_fmac_f32 v43, v8, v22 :: v_dual_sub_f32 v20, v31, v52
	s_delay_alu instid0(VALU_DEP_4) | instskip(NEXT) | instid1(VALU_DEP_4)
	v_fmac_f32_e32 v49, v8, v30
	v_dual_fmac_f32 v34, 0x32a5705f, v18 :: v_dual_sub_f32 v53, v6, v32
	s_delay_alu instid0(VALU_DEP_4) | instskip(NEXT) | instid1(VALU_DEP_4)
	v_dual_mul_f32 v22, 0x3fb8aa3b, v15 :: v_dual_sub_f32 v51, v8, v30
	v_sub_f32_e32 v16, v19, v43
	v_mul_f32_e32 v20, v14, v20
	v_rndne_f32_e32 v40, v24
	s_delay_alu instid0(VALU_DEP_4) | instskip(SKIP_3) | instid1(VALU_DEP_4)
	v_fma_f32 v28, 0x3fb8aa3b, v15, -v22
	v_sub_f32_e32 v19, v27, v49
	v_dual_sub_f32 v17, v7, v17 :: v_dual_sub_f32 v48, v8, v26
	v_dual_sub_f32 v29, v7, v29 :: v_dual_mul_f32 v16, v14, v16
	v_fmac_f32_e32 v28, 0x32a5705f, v15
	s_delay_alu instid0(VALU_DEP_4) | instskip(SKIP_3) | instid1(VALU_DEP_4)
	v_dual_mul_f32 v19, v14, v19 :: v_dual_sub_f32 v24, v24, v40
	v_rndne_f32_e32 v30, v22
	v_mul_f32_e32 v27, 0x3fb8aa3b, v20
	v_cmp_ngt_f32_e64 s0, 0xc2ce8ed0, v16
	v_mul_f32_e32 v26, 0x3fb8aa3b, v19
	v_add_f32_e32 v24, v24, v34
	v_sub_f32_e32 v22, v22, v30
	v_cvt_i32_f32_e32 v30, v30
	v_cmp_ngt_f32_e64 s3, 0xc2ce8ed0, v15
	v_rndne_f32_e32 v46, v26
	v_mul_f32_e32 v23, 0x3fb8aa3b, v16
	v_fma_f32 v43, 0x3fb8aa3b, v19, -v26
	v_add_f32_e32 v22, v22, v28
	v_fma_f32 v49, 0x3fb8aa3b, v20, -v27
	v_sub_f32_e32 v26, v26, v46
	v_fma_f32 v31, 0x3fb8aa3b, v16, -v23
	v_rndne_f32_e32 v32, v23
	v_fmac_f32_e32 v43, 0x32a5705f, v19
	v_exp_f32_e32 v22, v22
	v_rndne_f32_e32 v52, v27
	v_fmac_f32_e32 v31, 0x32a5705f, v16
	s_delay_alu instid0(VALU_DEP_3) | instskip(SKIP_1) | instid1(VALU_DEP_4)
	v_dual_sub_f32 v23, v23, v32 :: v_dual_add_f32 v26, v26, v43
	v_cvt_i32_f32_e32 v32, v32
	v_sub_f32_e32 v27, v27, v52
	v_exp_f32_e32 v24, v24
	s_delay_alu instid0(VALU_DEP_3) | instskip(SKIP_1) | instid1(TRANS32_DEP_3)
	v_add_f32_e32 v23, v23, v31
	v_exp_f32_e32 v26, v26
	v_ldexp_f32 v22, v22, v30
	v_cvt_i32_f32_e32 v40, v40
	v_cvt_i32_f32_e32 v46, v46
	v_exp_f32_e32 v23, v23
	v_cvt_i32_f32_e32 v52, v52
	v_cndmask_b32_e64 v22, 0, v22, s3
	v_cmp_nlt_f32_e64 s3, 0x42b17218, v15
	v_ldexp_f32 v24, v24, v40
	v_cmp_ngt_f32_e64 s1, 0xc2ce8ed0, v18
	v_ldexp_f32 v26, v26, v46
	v_cmp_ngt_f32_e64 s2, 0xc2ce8ed0, v19
	v_cmp_ngt_f32_e64 s4, 0xc2ce8ed0, v20
	s_delay_alu instid0(TRANS32_DEP_1) | instskip(NEXT) | instid1(VALU_DEP_1)
	v_ldexp_f32 v23, v23, v32
	v_cndmask_b32_e64 v15, 0, v23, s0
	v_cmp_nlt_f32_e64 s0, 0x42b17218, v16
	v_cndmask_b32_e64 v16, 0, v24, s1
	v_cmp_nlt_f32_e64 s1, 0x42b17218, v18
	;; [unrolled: 2-line block ×3, first 2 shown]
	v_cndmask_b32_e64 v15, 0x7f800000, v15, s0
	v_fmac_f32_e32 v49, 0x32a5705f, v20
	v_cndmask_b32_e64 v16, 0x7f800000, v16, s1
	s_delay_alu instid0(VALU_DEP_4) | instskip(NEXT) | instid1(VALU_DEP_1)
	v_cndmask_b32_e64 v18, 0x7f800000, v18, s2
	v_dual_add_f32 v27, v27, v49 :: v_dual_add_f32 v24, v18, v18
	s_delay_alu instid0(VALU_DEP_1) | instskip(NEXT) | instid1(VALU_DEP_1)
	v_exp_f32_e32 v27, v27
	v_mul_f32_e32 v30, v50, v24
	s_waitcnt_depctr 0xfff
	v_ldexp_f32 v27, v27, v52
	s_delay_alu instid0(VALU_DEP_1) | instskip(SKIP_2) | instid1(VALU_DEP_2)
	v_cndmask_b32_e64 v19, 0, v27, s4
	v_cmp_nlt_f32_e64 s4, 0x42b17218, v20
	v_cndmask_b32_e64 v20, 0x7f800000, v22, s3
	v_cndmask_b32_e64 v19, 0x7f800000, v19, s4
	s_delay_alu instid0(VALU_DEP_2) | instskip(NEXT) | instid1(VALU_DEP_2)
	v_add_f32_e32 v22, v20, v20
	v_dual_add_f32 v23, v16, v16 :: v_dual_add_f32 v26, v19, v19
	s_waitcnt vmcnt(0)
	v_fmac_f32_e32 v1, v35, v20
	s_delay_alu instid0(VALU_DEP_3) | instskip(SKIP_2) | instid1(VALU_DEP_3)
	v_dual_add_f32 v20, v15, v15 :: v_dual_mul_f32 v27, v41, v22
	v_mul_f32_e32 v17, v17, v22
	v_mul_f32_e32 v22, v42, v22
	;; [unrolled: 1-line block ×3, first 2 shown]
	s_delay_alu instid0(VALU_DEP_4) | instskip(NEXT) | instid1(VALU_DEP_3)
	v_dual_fmac_f32 v2, v35, v27 :: v_dual_mul_f32 v21, v21, v20
	v_fmac_f32_e32 v4, v35, v22
	v_mul_f32_e32 v22, v53, v26
	v_dual_mul_f32 v20, v45, v20 :: v_dual_fmac_f32 v1, v36, v15
	s_delay_alu instid0(VALU_DEP_4) | instskip(NEXT) | instid1(VALU_DEP_2)
	v_dual_mul_f32 v15, v47, v23 :: v_dual_fmac_f32 v2, v36, v28
	v_dual_mul_f32 v25, v25, v23 :: v_dual_fmac_f32 v4, v36, v20
	v_dual_mul_f32 v23, v48, v23 :: v_dual_mul_f32 v20, v33, v26
	s_waitcnt lgkmcnt(1)
	s_delay_alu instid0(VALU_DEP_3) | instskip(SKIP_1) | instid1(VALU_DEP_3)
	v_dual_fmac_f32 v3, v35, v17 :: v_dual_fmac_f32 v2, v37, v15
	v_mul_f32_e32 v29, v29, v24
	v_dual_mul_f32 v17, v51, v24 :: v_dual_fmac_f32 v4, v37, v23
	s_delay_alu instid0(VALU_DEP_3) | instskip(NEXT) | instid1(VALU_DEP_4)
	v_dual_fmac_f32 v1, v37, v16 :: v_dual_fmac_f32 v2, v38, v30
	v_fmac_f32_e32 v3, v36, v21
	v_mul_f32_e32 v15, v54, v26
	s_delay_alu instid0(VALU_DEP_4) | instskip(NEXT) | instid1(VALU_DEP_4)
	v_fmac_f32_e32 v4, v38, v17
	v_fmac_f32_e32 v1, v38, v18
	s_waitcnt lgkmcnt(0)
	v_dual_fmac_f32 v2, v39, v22 :: v_dual_fmac_f32 v3, v37, v25
	s_delay_alu instid0(VALU_DEP_3) | instskip(NEXT) | instid1(VALU_DEP_3)
	v_fmac_f32_e32 v4, v39, v15
	v_fmac_f32_e32 v1, v39, v19
	s_delay_alu instid0(VALU_DEP_3) | instskip(NEXT) | instid1(VALU_DEP_1)
	v_fmac_f32_e32 v3, v38, v29
	v_fmac_f32_e32 v3, v39, v20
	s_cbranch_scc1 .LBB0_12
; %bb.13:                               ;   in Loop: Header=BB0_6 Depth=1
	global_store_b128 v[9:10], v[1:4], off
	s_branch .LBB0_5
.LBB0_14:
	s_endpgm
	.section	.rodata,"a",@progbits
	.p2align	6, 0x0
	.amdhsa_kernel _Z2mdPK7box_strPK11FOUR_VECTORPKfPS2_fi
		.amdhsa_group_segment_fixed_size 3600
		.amdhsa_private_segment_fixed_size 0
		.amdhsa_kernarg_size 40
		.amdhsa_user_sgpr_count 15
		.amdhsa_user_sgpr_dispatch_ptr 0
		.amdhsa_user_sgpr_queue_ptr 0
		.amdhsa_user_sgpr_kernarg_segment_ptr 1
		.amdhsa_user_sgpr_dispatch_id 0
		.amdhsa_user_sgpr_private_segment_size 0
		.amdhsa_wavefront_size32 1
		.amdhsa_uses_dynamic_stack 0
		.amdhsa_enable_private_segment 0
		.amdhsa_system_sgpr_workgroup_id_x 1
		.amdhsa_system_sgpr_workgroup_id_y 0
		.amdhsa_system_sgpr_workgroup_id_z 0
		.amdhsa_system_sgpr_workgroup_info 0
		.amdhsa_system_vgpr_workitem_id 0
		.amdhsa_next_free_vgpr 55
		.amdhsa_next_free_sgpr 24
		.amdhsa_reserve_vcc 1
		.amdhsa_float_round_mode_32 0
		.amdhsa_float_round_mode_16_64 0
		.amdhsa_float_denorm_mode_32 3
		.amdhsa_float_denorm_mode_16_64 3
		.amdhsa_dx10_clamp 1
		.amdhsa_ieee_mode 1
		.amdhsa_fp16_overflow 0
		.amdhsa_workgroup_processor_mode 1
		.amdhsa_memory_ordered 1
		.amdhsa_forward_progress 0
		.amdhsa_shared_vgpr_count 0
		.amdhsa_exception_fp_ieee_invalid_op 0
		.amdhsa_exception_fp_denorm_src 0
		.amdhsa_exception_fp_ieee_div_zero 0
		.amdhsa_exception_fp_ieee_overflow 0
		.amdhsa_exception_fp_ieee_underflow 0
		.amdhsa_exception_fp_ieee_inexact 0
		.amdhsa_exception_int_div_zero 0
	.end_amdhsa_kernel
	.text
.Lfunc_end0:
	.size	_Z2mdPK7box_strPK11FOUR_VECTORPKfPS2_fi, .Lfunc_end0-_Z2mdPK7box_strPK11FOUR_VECTORPKfPS2_fi
                                        ; -- End function
	.section	.AMDGPU.csdata,"",@progbits
; Kernel info:
; codeLenInByte = 1672
; NumSgprs: 26
; NumVgprs: 55
; ScratchSize: 0
; MemoryBound: 0
; FloatMode: 240
; IeeeMode: 1
; LDSByteSize: 3600 bytes/workgroup (compile time only)
; SGPRBlocks: 3
; VGPRBlocks: 6
; NumSGPRsForWavesPerEU: 26
; NumVGPRsForWavesPerEU: 55
; Occupancy: 16
; WaveLimiterHint : 1
; COMPUTE_PGM_RSRC2:SCRATCH_EN: 0
; COMPUTE_PGM_RSRC2:USER_SGPR: 15
; COMPUTE_PGM_RSRC2:TRAP_HANDLER: 0
; COMPUTE_PGM_RSRC2:TGID_X_EN: 1
; COMPUTE_PGM_RSRC2:TGID_Y_EN: 0
; COMPUTE_PGM_RSRC2:TGID_Z_EN: 0
; COMPUTE_PGM_RSRC2:TIDIG_COMP_CNT: 0
	.text
	.p2alignl 7, 3214868480
	.fill 96, 4, 3214868480
	.type	__hip_cuid_3ca34d1408494b6e,@object ; @__hip_cuid_3ca34d1408494b6e
	.section	.bss,"aw",@nobits
	.globl	__hip_cuid_3ca34d1408494b6e
__hip_cuid_3ca34d1408494b6e:
	.byte	0                               ; 0x0
	.size	__hip_cuid_3ca34d1408494b6e, 1

	.ident	"AMD clang version 19.0.0git (https://github.com/RadeonOpenCompute/llvm-project roc-6.4.0 25133 c7fe45cf4b819c5991fe208aaa96edf142730f1d)"
	.section	".note.GNU-stack","",@progbits
	.addrsig
	.addrsig_sym __hip_cuid_3ca34d1408494b6e
	.amdgpu_metadata
---
amdhsa.kernels:
  - .args:
      - .address_space:  global
        .offset:         0
        .size:           8
        .value_kind:     global_buffer
      - .address_space:  global
        .offset:         8
        .size:           8
        .value_kind:     global_buffer
      - .address_space:  global
        .offset:         16
        .size:           8
        .value_kind:     global_buffer
      - .address_space:  global
        .offset:         24
        .size:           8
        .value_kind:     global_buffer
      - .offset:         32
        .size:           4
        .value_kind:     by_value
      - .offset:         36
        .size:           4
        .value_kind:     by_value
    .group_segment_fixed_size: 3600
    .kernarg_segment_align: 8
    .kernarg_segment_size: 40
    .language:       OpenCL C
    .language_version:
      - 2
      - 0
    .max_flat_workgroup_size: 1024
    .name:           _Z2mdPK7box_strPK11FOUR_VECTORPKfPS2_fi
    .private_segment_fixed_size: 0
    .sgpr_count:     26
    .sgpr_spill_count: 0
    .symbol:         _Z2mdPK7box_strPK11FOUR_VECTORPKfPS2_fi.kd
    .uniform_work_group_size: 1
    .uses_dynamic_stack: false
    .vgpr_count:     55
    .vgpr_spill_count: 0
    .wavefront_size: 32
    .workgroup_processor_mode: 1
amdhsa.target:   amdgcn-amd-amdhsa--gfx1100
amdhsa.version:
  - 1
  - 2
...

	.end_amdgpu_metadata
